;; amdgpu-corpus repo=ROCm/rocFFT kind=compiled arch=gfx1201 opt=O3
	.text
	.amdgcn_target "amdgcn-amd-amdhsa--gfx1201"
	.amdhsa_code_object_version 6
	.protected	fft_rtc_fwd_len588_factors_7_3_4_7_wgs_252_tpt_84_half_ip_CI_unitstride_sbrr_C2R_dirReg ; -- Begin function fft_rtc_fwd_len588_factors_7_3_4_7_wgs_252_tpt_84_half_ip_CI_unitstride_sbrr_C2R_dirReg
	.globl	fft_rtc_fwd_len588_factors_7_3_4_7_wgs_252_tpt_84_half_ip_CI_unitstride_sbrr_C2R_dirReg
	.p2align	8
	.type	fft_rtc_fwd_len588_factors_7_3_4_7_wgs_252_tpt_84_half_ip_CI_unitstride_sbrr_C2R_dirReg,@function
fft_rtc_fwd_len588_factors_7_3_4_7_wgs_252_tpt_84_half_ip_CI_unitstride_sbrr_C2R_dirReg: ; @fft_rtc_fwd_len588_factors_7_3_4_7_wgs_252_tpt_84_half_ip_CI_unitstride_sbrr_C2R_dirReg
; %bb.0:
	s_load_b128 s[4:7], s[0:1], 0x0
	v_mul_u32_u24_e32 v1, 0x30d, v0
	s_clause 0x1
	s_load_b64 s[8:9], s[0:1], 0x50
	s_load_b64 s[10:11], s[0:1], 0x18
	v_mov_b32_e32 v5, 0
	v_lshrrev_b32_e32 v1, 16, v1
	s_delay_alu instid0(VALU_DEP_1) | instskip(SKIP_3) | instid1(VALU_DEP_1)
	v_mad_co_u64_u32 v[1:2], null, ttmp9, 3, v[1:2]
	v_mov_b32_e32 v3, 0
	v_mov_b32_e32 v4, 0
	;; [unrolled: 1-line block ×4, first 2 shown]
	s_wait_kmcnt 0x0
	v_cmp_lt_u64_e64 s2, s[6:7], 2
	v_mov_b32_e32 v9, v1
	s_delay_alu instid0(VALU_DEP_2)
	s_and_b32 vcc_lo, exec_lo, s2
	s_cbranch_vccnz .LBB0_8
; %bb.1:
	s_load_b64 s[2:3], s[0:1], 0x10
	v_dual_mov_b32 v3, 0 :: v_dual_mov_b32 v8, v2
	v_dual_mov_b32 v4, 0 :: v_dual_mov_b32 v7, v1
	s_add_nc_u64 s[12:13], s[10:11], 8
	s_mov_b64 s[14:15], 1
	s_wait_kmcnt 0x0
	s_add_nc_u64 s[16:17], s[2:3], 8
	s_mov_b32 s3, 0
.LBB0_2:                                ; =>This Inner Loop Header: Depth=1
	s_load_b64 s[18:19], s[16:17], 0x0
                                        ; implicit-def: $vgpr9_vgpr10
	s_mov_b32 s2, exec_lo
	s_wait_kmcnt 0x0
	v_or_b32_e32 v6, s19, v8
	s_delay_alu instid0(VALU_DEP_1)
	v_cmpx_ne_u64_e32 0, v[5:6]
	s_wait_alu 0xfffe
	s_xor_b32 s20, exec_lo, s2
	s_cbranch_execz .LBB0_4
; %bb.3:                                ;   in Loop: Header=BB0_2 Depth=1
	s_cvt_f32_u32 s2, s18
	s_cvt_f32_u32 s21, s19
	s_sub_nc_u64 s[24:25], 0, s[18:19]
	s_wait_alu 0xfffe
	s_delay_alu instid0(SALU_CYCLE_1) | instskip(SKIP_1) | instid1(SALU_CYCLE_2)
	s_fmamk_f32 s2, s21, 0x4f800000, s2
	s_wait_alu 0xfffe
	v_s_rcp_f32 s2, s2
	s_delay_alu instid0(TRANS32_DEP_1) | instskip(SKIP_1) | instid1(SALU_CYCLE_2)
	s_mul_f32 s2, s2, 0x5f7ffffc
	s_wait_alu 0xfffe
	s_mul_f32 s21, s2, 0x2f800000
	s_wait_alu 0xfffe
	s_delay_alu instid0(SALU_CYCLE_2) | instskip(SKIP_1) | instid1(SALU_CYCLE_2)
	s_trunc_f32 s21, s21
	s_wait_alu 0xfffe
	s_fmamk_f32 s2, s21, 0xcf800000, s2
	s_cvt_u32_f32 s23, s21
	s_wait_alu 0xfffe
	s_delay_alu instid0(SALU_CYCLE_1) | instskip(SKIP_1) | instid1(SALU_CYCLE_2)
	s_cvt_u32_f32 s22, s2
	s_wait_alu 0xfffe
	s_mul_u64 s[26:27], s[24:25], s[22:23]
	s_wait_alu 0xfffe
	s_mul_hi_u32 s29, s22, s27
	s_mul_i32 s28, s22, s27
	s_mul_hi_u32 s2, s22, s26
	s_mul_i32 s30, s23, s26
	s_wait_alu 0xfffe
	s_add_nc_u64 s[28:29], s[2:3], s[28:29]
	s_mul_hi_u32 s21, s23, s26
	s_mul_hi_u32 s31, s23, s27
	s_add_co_u32 s2, s28, s30
	s_wait_alu 0xfffe
	s_add_co_ci_u32 s2, s29, s21
	s_mul_i32 s26, s23, s27
	s_add_co_ci_u32 s27, s31, 0
	s_wait_alu 0xfffe
	s_add_nc_u64 s[26:27], s[2:3], s[26:27]
	s_wait_alu 0xfffe
	v_add_co_u32 v2, s2, s22, s26
	s_delay_alu instid0(VALU_DEP_1) | instskip(SKIP_1) | instid1(VALU_DEP_1)
	s_cmp_lg_u32 s2, 0
	s_add_co_ci_u32 s23, s23, s27
	v_readfirstlane_b32 s22, v2
	s_wait_alu 0xfffe
	s_delay_alu instid0(VALU_DEP_1)
	s_mul_u64 s[24:25], s[24:25], s[22:23]
	s_wait_alu 0xfffe
	s_mul_hi_u32 s27, s22, s25
	s_mul_i32 s26, s22, s25
	s_mul_hi_u32 s2, s22, s24
	s_mul_i32 s28, s23, s24
	s_wait_alu 0xfffe
	s_add_nc_u64 s[26:27], s[2:3], s[26:27]
	s_mul_hi_u32 s21, s23, s24
	s_mul_hi_u32 s22, s23, s25
	s_wait_alu 0xfffe
	s_add_co_u32 s2, s26, s28
	s_add_co_ci_u32 s2, s27, s21
	s_mul_i32 s24, s23, s25
	s_add_co_ci_u32 s25, s22, 0
	s_wait_alu 0xfffe
	s_add_nc_u64 s[24:25], s[2:3], s[24:25]
	s_wait_alu 0xfffe
	v_add_co_u32 v2, s2, v2, s24
	s_delay_alu instid0(VALU_DEP_1) | instskip(SKIP_1) | instid1(VALU_DEP_1)
	s_cmp_lg_u32 s2, 0
	s_add_co_ci_u32 s2, s23, s25
	v_mul_hi_u32 v6, v7, v2
	s_wait_alu 0xfffe
	v_mad_co_u64_u32 v[9:10], null, v7, s2, 0
	v_mad_co_u64_u32 v[11:12], null, v8, v2, 0
	;; [unrolled: 1-line block ×3, first 2 shown]
	s_delay_alu instid0(VALU_DEP_3) | instskip(SKIP_1) | instid1(VALU_DEP_4)
	v_add_co_u32 v2, vcc_lo, v6, v9
	s_wait_alu 0xfffd
	v_add_co_ci_u32_e32 v6, vcc_lo, 0, v10, vcc_lo
	s_delay_alu instid0(VALU_DEP_2) | instskip(SKIP_1) | instid1(VALU_DEP_2)
	v_add_co_u32 v2, vcc_lo, v2, v11
	s_wait_alu 0xfffd
	v_add_co_ci_u32_e32 v2, vcc_lo, v6, v12, vcc_lo
	s_wait_alu 0xfffd
	v_add_co_ci_u32_e32 v6, vcc_lo, 0, v14, vcc_lo
	s_delay_alu instid0(VALU_DEP_2) | instskip(SKIP_1) | instid1(VALU_DEP_2)
	v_add_co_u32 v2, vcc_lo, v2, v13
	s_wait_alu 0xfffd
	v_add_co_ci_u32_e32 v6, vcc_lo, 0, v6, vcc_lo
	s_delay_alu instid0(VALU_DEP_2) | instskip(SKIP_1) | instid1(VALU_DEP_3)
	v_mul_lo_u32 v11, s19, v2
	v_mad_co_u64_u32 v[9:10], null, s18, v2, 0
	v_mul_lo_u32 v12, s18, v6
	s_delay_alu instid0(VALU_DEP_2) | instskip(NEXT) | instid1(VALU_DEP_2)
	v_sub_co_u32 v9, vcc_lo, v7, v9
	v_add3_u32 v10, v10, v12, v11
	s_delay_alu instid0(VALU_DEP_1) | instskip(SKIP_1) | instid1(VALU_DEP_1)
	v_sub_nc_u32_e32 v11, v8, v10
	s_wait_alu 0xfffd
	v_subrev_co_ci_u32_e64 v11, s2, s19, v11, vcc_lo
	v_add_co_u32 v12, s2, v2, 2
	s_wait_alu 0xf1ff
	v_add_co_ci_u32_e64 v13, s2, 0, v6, s2
	v_sub_co_u32 v14, s2, v9, s18
	v_sub_co_ci_u32_e32 v10, vcc_lo, v8, v10, vcc_lo
	s_wait_alu 0xf1ff
	v_subrev_co_ci_u32_e64 v11, s2, 0, v11, s2
	s_delay_alu instid0(VALU_DEP_3) | instskip(NEXT) | instid1(VALU_DEP_3)
	v_cmp_le_u32_e32 vcc_lo, s18, v14
	v_cmp_eq_u32_e64 s2, s19, v10
	s_wait_alu 0xfffd
	v_cndmask_b32_e64 v14, 0, -1, vcc_lo
	v_cmp_le_u32_e32 vcc_lo, s19, v11
	s_wait_alu 0xfffd
	v_cndmask_b32_e64 v15, 0, -1, vcc_lo
	v_cmp_le_u32_e32 vcc_lo, s18, v9
	;; [unrolled: 3-line block ×3, first 2 shown]
	s_wait_alu 0xfffd
	v_cndmask_b32_e64 v16, 0, -1, vcc_lo
	v_cmp_eq_u32_e32 vcc_lo, s19, v11
	s_wait_alu 0xf1ff
	s_delay_alu instid0(VALU_DEP_2)
	v_cndmask_b32_e64 v9, v16, v9, s2
	s_wait_alu 0xfffd
	v_cndmask_b32_e32 v11, v15, v14, vcc_lo
	v_add_co_u32 v14, vcc_lo, v2, 1
	s_wait_alu 0xfffd
	v_add_co_ci_u32_e32 v15, vcc_lo, 0, v6, vcc_lo
	s_delay_alu instid0(VALU_DEP_3) | instskip(SKIP_1) | instid1(VALU_DEP_2)
	v_cmp_ne_u32_e32 vcc_lo, 0, v11
	s_wait_alu 0xfffd
	v_dual_cndmask_b32 v10, v15, v13 :: v_dual_cndmask_b32 v11, v14, v12
	v_cmp_ne_u32_e32 vcc_lo, 0, v9
	s_wait_alu 0xfffd
	s_delay_alu instid0(VALU_DEP_2) | instskip(NEXT) | instid1(VALU_DEP_3)
	v_cndmask_b32_e32 v10, v6, v10, vcc_lo
	v_cndmask_b32_e32 v9, v2, v11, vcc_lo
.LBB0_4:                                ;   in Loop: Header=BB0_2 Depth=1
	s_wait_alu 0xfffe
	s_and_not1_saveexec_b32 s2, s20
	s_cbranch_execz .LBB0_6
; %bb.5:                                ;   in Loop: Header=BB0_2 Depth=1
	v_cvt_f32_u32_e32 v2, s18
	s_sub_co_i32 s20, 0, s18
	s_delay_alu instid0(VALU_DEP_1) | instskip(NEXT) | instid1(TRANS32_DEP_1)
	v_rcp_iflag_f32_e32 v2, v2
	v_mul_f32_e32 v2, 0x4f7ffffe, v2
	s_delay_alu instid0(VALU_DEP_1) | instskip(SKIP_1) | instid1(VALU_DEP_1)
	v_cvt_u32_f32_e32 v2, v2
	s_wait_alu 0xfffe
	v_mul_lo_u32 v6, s20, v2
	s_delay_alu instid0(VALU_DEP_1) | instskip(NEXT) | instid1(VALU_DEP_1)
	v_mul_hi_u32 v6, v2, v6
	v_add_nc_u32_e32 v2, v2, v6
	s_delay_alu instid0(VALU_DEP_1) | instskip(NEXT) | instid1(VALU_DEP_1)
	v_mul_hi_u32 v2, v7, v2
	v_mul_lo_u32 v6, v2, s18
	v_add_nc_u32_e32 v9, 1, v2
	s_delay_alu instid0(VALU_DEP_2) | instskip(NEXT) | instid1(VALU_DEP_1)
	v_sub_nc_u32_e32 v6, v7, v6
	v_subrev_nc_u32_e32 v10, s18, v6
	v_cmp_le_u32_e32 vcc_lo, s18, v6
	s_wait_alu 0xfffd
	s_delay_alu instid0(VALU_DEP_2) | instskip(SKIP_2) | instid1(VALU_DEP_3)
	v_cndmask_b32_e32 v6, v6, v10, vcc_lo
	v_mov_b32_e32 v10, v5
	v_cndmask_b32_e32 v2, v2, v9, vcc_lo
	v_cmp_le_u32_e32 vcc_lo, s18, v6
	s_delay_alu instid0(VALU_DEP_2) | instskip(SKIP_1) | instid1(VALU_DEP_1)
	v_add_nc_u32_e32 v9, 1, v2
	s_wait_alu 0xfffd
	v_cndmask_b32_e32 v9, v2, v9, vcc_lo
.LBB0_6:                                ;   in Loop: Header=BB0_2 Depth=1
	s_wait_alu 0xfffe
	s_or_b32 exec_lo, exec_lo, s2
	s_load_b64 s[20:21], s[12:13], 0x0
	v_mul_lo_u32 v2, v10, s18
	v_mul_lo_u32 v6, v9, s19
	v_mad_co_u64_u32 v[11:12], null, v9, s18, 0
	s_add_nc_u64 s[14:15], s[14:15], 1
	s_add_nc_u64 s[12:13], s[12:13], 8
	s_wait_alu 0xfffe
	v_cmp_ge_u64_e64 s2, s[14:15], s[6:7]
	s_add_nc_u64 s[16:17], s[16:17], 8
	s_delay_alu instid0(VALU_DEP_2) | instskip(NEXT) | instid1(VALU_DEP_3)
	v_add3_u32 v2, v12, v6, v2
	v_sub_co_u32 v6, vcc_lo, v7, v11
	s_wait_alu 0xfffd
	s_delay_alu instid0(VALU_DEP_2) | instskip(SKIP_3) | instid1(VALU_DEP_2)
	v_sub_co_ci_u32_e32 v2, vcc_lo, v8, v2, vcc_lo
	s_and_b32 vcc_lo, exec_lo, s2
	s_wait_kmcnt 0x0
	v_mul_lo_u32 v7, s21, v6
	v_mul_lo_u32 v2, s20, v2
	v_mad_co_u64_u32 v[3:4], null, s20, v6, v[3:4]
	s_delay_alu instid0(VALU_DEP_1)
	v_add3_u32 v4, v7, v4, v2
	s_wait_alu 0xfffe
	s_cbranch_vccnz .LBB0_8
; %bb.7:                                ;   in Loop: Header=BB0_2 Depth=1
	v_dual_mov_b32 v7, v9 :: v_dual_mov_b32 v8, v10
	s_branch .LBB0_2
.LBB0_8:
	s_lshl_b64 s[2:3], s[6:7], 3
	v_mul_hi_u32 v2, 0xaaaaaaab, v1
	s_wait_alu 0xfffe
	s_add_nc_u64 s[2:3], s[10:11], s[2:3]
	s_load_b64 s[0:1], s[0:1], 0x20
	s_load_b64 s[2:3], s[2:3], 0x0
	v_mul_hi_u32 v5, 0x30c30c4, v0
	s_delay_alu instid0(VALU_DEP_2) | instskip(NEXT) | instid1(VALU_DEP_1)
	v_lshrrev_b32_e32 v2, 1, v2
	v_lshl_add_u32 v6, v2, 1, v2
	s_delay_alu instid0(VALU_DEP_1)
	v_sub_nc_u32_e32 v1, v1, v6
	s_wait_kmcnt 0x0
	v_cmp_gt_u64_e32 vcc_lo, s[0:1], v[9:10]
	v_mul_lo_u32 v7, s2, v10
	v_mul_lo_u32 v8, s3, v9
	v_mad_co_u64_u32 v[2:3], null, s2, v9, v[3:4]
	v_mul_u32_u24_e32 v4, 0x54, v5
	v_mul_u32_u24_e32 v6, 0x24d, v1
	s_delay_alu instid0(VALU_DEP_2) | instskip(NEXT) | instid1(VALU_DEP_4)
	v_sub_nc_u32_e32 v0, v0, v4
	v_add3_u32 v3, v8, v3, v7
	s_delay_alu instid0(VALU_DEP_3) | instskip(NEXT) | instid1(VALU_DEP_2)
	v_lshlrev_b32_e32 v12, 2, v6
	v_lshlrev_b64_e32 v[2:3], 2, v[2:3]
	s_and_saveexec_b32 s1, vcc_lo
	s_cbranch_execz .LBB0_12
; %bb.9:
	v_mov_b32_e32 v1, 0
	s_delay_alu instid0(VALU_DEP_2) | instskip(SKIP_2) | instid1(VALU_DEP_3)
	v_add_co_u32 v4, s0, s8, v2
	s_wait_alu 0xf1ff
	v_add_co_ci_u32_e64 v5, s0, s9, v3, s0
	v_lshlrev_b64_e32 v[7:8], 2, v[0:1]
	v_lshlrev_b32_e32 v1, 2, v0
	s_mov_b32 s2, exec_lo
	s_delay_alu instid0(VALU_DEP_1) | instskip(NEXT) | instid1(VALU_DEP_3)
	v_add3_u32 v1, 0, v12, v1
	v_add_co_u32 v7, s0, v4, v7
	s_wait_alu 0xf1ff
	v_add_co_ci_u32_e64 v8, s0, v5, v8, s0
	s_clause 0x6
	global_load_b32 v9, v[7:8], off
	global_load_b32 v10, v[7:8], off offset:336
	global_load_b32 v11, v[7:8], off offset:672
	;; [unrolled: 1-line block ×6, first 2 shown]
	v_add_nc_u32_e32 v8, 0x400, v1
	s_wait_loadcnt 0x5
	ds_store_2addr_b32 v1, v9, v10 offset1:84
	s_wait_loadcnt 0x3
	ds_store_2addr_b32 v1, v11, v13 offset0:168 offset1:252
	s_wait_loadcnt 0x1
	ds_store_2addr_b32 v8, v14, v15 offset0:80 offset1:164
	s_wait_loadcnt 0x0
	ds_store_b32 v1, v7 offset:2016
	v_cmpx_eq_u32_e32 0x53, v0
	s_cbranch_execz .LBB0_11
; %bb.10:
	global_load_b32 v4, v[4:5], off offset:2352
	v_mov_b32_e32 v0, 0x53
	s_wait_loadcnt 0x0
	ds_store_b32 v1, v4 offset:2020
.LBB0_11:
	s_wait_alu 0xfffe
	s_or_b32 exec_lo, exec_lo, s2
.LBB0_12:
	s_wait_alu 0xfffe
	s_or_b32 exec_lo, exec_lo, s1
	v_lshl_add_u32 v11, v6, 2, 0
	v_lshlrev_b32_e32 v6, 2, v0
	global_wb scope:SCOPE_SE
	s_wait_dscnt 0x0
	s_barrier_signal -1
	s_barrier_wait -1
	global_inv scope:SCOPE_SE
	v_add_nc_u32_e32 v13, v11, v6
	v_sub_nc_u32_e32 v7, v11, v6
	s_mov_b32 s1, exec_lo
	ds_load_u16 v1, v13
	ds_load_u16 v4, v7 offset:2352
	s_wait_dscnt 0x0
	v_add_f16_e32 v9, v4, v1
	v_sub_f16_e32 v8, v1, v4
                                        ; implicit-def: $vgpr4_vgpr5
	v_cmpx_ne_u32_e32 0, v0
	s_wait_alu 0xfffe
	s_xor_b32 s1, exec_lo, s1
	s_cbranch_execz .LBB0_14
; %bb.13:
	v_mov_b32_e32 v1, 0
	s_delay_alu instid0(VALU_DEP_1) | instskip(NEXT) | instid1(VALU_DEP_1)
	v_lshlrev_b64_e32 v[4:5], 2, v[0:1]
	v_add_co_u32 v4, s0, s4, v4
	s_wait_alu 0xf1ff
	s_delay_alu instid0(VALU_DEP_2)
	v_add_co_ci_u32_e64 v5, s0, s5, v5, s0
	global_load_b32 v4, v[4:5], off offset:2324
	ds_load_u16 v5, v7 offset:2354
	ds_load_u16 v10, v13 offset:2
	s_wait_dscnt 0x0
	v_add_f16_e32 v14, v5, v10
	v_sub_f16_e32 v5, v10, v5
	s_wait_loadcnt 0x0
	v_lshrrev_b32_e32 v15, 16, v4
	s_delay_alu instid0(VALU_DEP_1) | instskip(NEXT) | instid1(VALU_DEP_3)
	v_fma_f16 v10, v8, v15, v9
	v_fma_f16 v16, v14, v15, v5
	v_fma_f16 v9, -v8, v15, v9
	v_fma_f16 v5, v14, v15, -v5
	s_delay_alu instid0(VALU_DEP_4) | instskip(NEXT) | instid1(VALU_DEP_4)
	v_fma_f16 v10, -v4, v14, v10
	v_fmac_f16_e32 v16, v8, v4
	s_delay_alu instid0(VALU_DEP_4) | instskip(NEXT) | instid1(VALU_DEP_4)
	v_fmac_f16_e32 v9, v4, v14
	v_fmac_f16_e32 v5, v8, v4
	s_delay_alu instid0(VALU_DEP_3) | instskip(NEXT) | instid1(VALU_DEP_2)
	v_pack_b32_f16 v8, v10, v16
	v_pack_b32_f16 v9, v9, v5
	v_dual_mov_b32 v5, v1 :: v_dual_mov_b32 v4, v0
	ds_store_b32 v13, v8
	ds_store_b32 v7, v9 offset:2352
                                        ; implicit-def: $vgpr9
                                        ; implicit-def: $vgpr8
.LBB0_14:
	s_wait_alu 0xfffe
	s_and_not1_saveexec_b32 s0, s1
	s_cbranch_execz .LBB0_16
; %bb.15:
	v_pack_b32_f16 v1, v9, v8
	v_mov_b32_e32 v4, 0
	v_mov_b32_e32 v5, 0
	ds_store_b32 v13, v1
	ds_load_b32 v1, v11 offset:1176
	s_wait_dscnt 0x0
	v_pk_mul_f16 v1, 0xc0004000, v1
	ds_store_b32 v11, v1 offset:1176
.LBB0_16:
	s_wait_alu 0xfffe
	s_or_b32 exec_lo, exec_lo, s0
	v_lshlrev_b64_e32 v[4:5], 2, v[4:5]
	s_add_nc_u64 s[0:1], s[4:5], 0x914
	s_wait_alu 0xfffe
	s_delay_alu instid0(VALU_DEP_1) | instskip(SKIP_1) | instid1(VALU_DEP_2)
	v_add_co_u32 v4, s0, s0, v4
	s_wait_alu 0xf1ff
	v_add_co_ci_u32_e64 v5, s0, s1, v5, s0
	s_mov_b32 s1, exec_lo
	s_clause 0x1
	global_load_b32 v1, v[4:5], off offset:336
	global_load_b32 v8, v[4:5], off offset:672
	ds_load_b32 v9, v13 offset:336
	ds_load_b32 v10, v7 offset:2016
	s_wait_dscnt 0x1
	v_lshrrev_b32_e32 v14, 16, v9
	s_wait_dscnt 0x0
	v_lshrrev_b32_e32 v15, 16, v10
	v_add_f16_e32 v16, v9, v10
	v_sub_f16_e32 v9, v9, v10
	s_delay_alu instid0(VALU_DEP_3) | instskip(SKIP_3) | instid1(VALU_DEP_1)
	v_add_f16_e32 v10, v15, v14
	v_sub_f16_e32 v14, v14, v15
	s_wait_loadcnt 0x1
	v_lshrrev_b32_e32 v17, 16, v1
	v_fma_f16 v15, v9, v17, v16
	s_delay_alu instid0(VALU_DEP_3) | instskip(SKIP_2) | instid1(VALU_DEP_4)
	v_fma_f16 v18, v10, v17, v14
	v_fma_f16 v16, -v9, v17, v16
	v_fma_f16 v14, v10, v17, -v14
	v_fma_f16 v15, -v1, v10, v15
	s_delay_alu instid0(VALU_DEP_4) | instskip(NEXT) | instid1(VALU_DEP_4)
	v_fmac_f16_e32 v18, v9, v1
	v_fmac_f16_e32 v16, v1, v10
	s_delay_alu instid0(VALU_DEP_4) | instskip(NEXT) | instid1(VALU_DEP_3)
	v_fmac_f16_e32 v14, v9, v1
	v_pack_b32_f16 v1, v15, v18
	s_wait_loadcnt 0x0
	v_lshrrev_b32_e32 v15, 16, v8
	s_delay_alu instid0(VALU_DEP_3)
	v_pack_b32_f16 v9, v16, v14
	ds_store_b32 v13, v1 offset:336
	ds_store_b32 v7, v9 offset:2016
	ds_load_b32 v1, v13 offset:672
	ds_load_b32 v9, v7 offset:1680
	s_wait_dscnt 0x1
	v_lshrrev_b32_e32 v10, 16, v1
	s_wait_dscnt 0x0
	v_lshrrev_b32_e32 v14, 16, v9
	v_add_f16_e32 v16, v1, v9
	v_sub_f16_e32 v1, v1, v9
	s_delay_alu instid0(VALU_DEP_3) | instskip(SKIP_1) | instid1(VALU_DEP_3)
	v_add_f16_e32 v9, v14, v10
	v_sub_f16_e32 v10, v10, v14
	v_fma_f16 v14, v1, v15, v16
	v_fma_f16 v16, -v1, v15, v16
	s_delay_alu instid0(VALU_DEP_3) | instskip(SKIP_1) | instid1(VALU_DEP_4)
	v_fma_f16 v17, v9, v15, v10
	v_fma_f16 v10, v9, v15, -v10
	v_fma_f16 v14, -v8, v9, v14
	s_delay_alu instid0(VALU_DEP_4) | instskip(NEXT) | instid1(VALU_DEP_4)
	v_fmac_f16_e32 v16, v8, v9
	v_fmac_f16_e32 v17, v1, v8
	s_delay_alu instid0(VALU_DEP_4) | instskip(NEXT) | instid1(VALU_DEP_2)
	v_fmac_f16_e32 v10, v1, v8
	v_pack_b32_f16 v1, v14, v17
	s_delay_alu instid0(VALU_DEP_2)
	v_pack_b32_f16 v8, v16, v10
	ds_store_b32 v13, v1 offset:672
	ds_store_b32 v7, v8 offset:1680
	v_cmpx_gt_u32_e32 42, v0
	s_cbranch_execz .LBB0_18
; %bb.17:
	global_load_b32 v1, v[4:5], off offset:1008
	ds_load_b32 v4, v13 offset:1008
	ds_load_b32 v5, v7 offset:1344
	s_wait_dscnt 0x1
	v_lshrrev_b32_e32 v8, 16, v4
	s_wait_dscnt 0x0
	v_lshrrev_b32_e32 v9, 16, v5
	v_add_f16_e32 v10, v4, v5
	v_sub_f16_e32 v4, v4, v5
	s_delay_alu instid0(VALU_DEP_3) | instskip(SKIP_3) | instid1(VALU_DEP_1)
	v_add_f16_e32 v5, v9, v8
	v_sub_f16_e32 v8, v8, v9
	s_wait_loadcnt 0x0
	v_lshrrev_b32_e32 v14, 16, v1
	v_fma_f16 v9, v4, v14, v10
	s_delay_alu instid0(VALU_DEP_3) | instskip(SKIP_2) | instid1(VALU_DEP_4)
	v_fma_f16 v15, v5, v14, v8
	v_fma_f16 v10, -v4, v14, v10
	v_fma_f16 v8, v5, v14, -v8
	v_fma_f16 v9, -v1, v5, v9
	s_delay_alu instid0(VALU_DEP_4) | instskip(NEXT) | instid1(VALU_DEP_4)
	v_fmac_f16_e32 v15, v4, v1
	v_fmac_f16_e32 v10, v1, v5
	s_delay_alu instid0(VALU_DEP_4) | instskip(NEXT) | instid1(VALU_DEP_3)
	v_fmac_f16_e32 v8, v4, v1
	v_pack_b32_f16 v1, v9, v15
	s_delay_alu instid0(VALU_DEP_2)
	v_pack_b32_f16 v4, v10, v8
	ds_store_b32 v13, v1 offset:1008
	ds_store_b32 v7, v4 offset:1344
.LBB0_18:
	s_wait_alu 0xfffe
	s_or_b32 exec_lo, exec_lo, s1
	v_add3_u32 v1, 0, v6, v12
	global_wb scope:SCOPE_SE
	s_wait_dscnt 0x0
	s_barrier_signal -1
	s_barrier_wait -1
	global_inv scope:SCOPE_SE
	v_add_nc_u32_e32 v10, 0x400, v1
	v_add_nc_u32_e32 v7, 0x200, v1
	global_wb scope:SCOPE_SE
	s_barrier_signal -1
	s_barrier_wait -1
	global_inv scope:SCOPE_SE
	ds_load_2addr_b32 v[4:5], v1 offset0:84 offset1:168
	ds_load_2addr_b32 v[8:9], v10 offset0:164 offset1:248
	;; [unrolled: 1-line block ×3, first 2 shown]
	ds_load_b32 v6, v13
	v_mad_u32_u24 v16, v0, 24, v1
	global_wb scope:SCOPE_SE
	s_wait_dscnt 0x0
	s_barrier_signal -1
	s_barrier_wait -1
	global_inv scope:SCOPE_SE
	v_cmp_gt_u32_e64 s0, 28, v0
                                        ; implicit-def: $vgpr22
                                        ; implicit-def: $vgpr23
	v_pk_add_f16 v17, v4, v9
	v_pk_add_f16 v18, v5, v8
	;; [unrolled: 1-line block ×3, first 2 shown]
	v_pk_add_f16 v5, v5, v8 neg_lo:[0,1] neg_hi:[0,1]
	v_pk_add_f16 v8, v15, v14 neg_lo:[0,1] neg_hi:[0,1]
	;; [unrolled: 1-line block ×3, first 2 shown]
	v_pk_add_f16 v9, v18, v17
	v_pk_add_f16 v14, v18, v17 neg_lo:[0,1] neg_hi:[0,1]
	v_pk_add_f16 v15, v17, v19 neg_lo:[0,1] neg_hi:[0,1]
	v_pk_add_f16 v17, v8, v5
	v_pk_add_f16 v20, v4, v8 neg_lo:[0,1] neg_hi:[0,1]
	v_pk_add_f16 v21, v5, v4 neg_lo:[0,1] neg_hi:[0,1]
	;; [unrolled: 1-line block ×3, first 2 shown]
	v_pk_add_f16 v8, v19, v9
	v_pk_add_f16 v18, v19, v18 neg_lo:[0,1] neg_hi:[0,1]
	v_pk_mul_f16 v9, 0x3a52, v15 op_sel_hi:[0,1]
	v_pk_mul_f16 v14, 0x39e0, v14 op_sel_hi:[0,1]
	;; [unrolled: 1-line block ×3, first 2 shown]
	v_pk_add_f16 v4, v17, v4
	v_pk_add_f16 v17, v6, v8
	v_pk_mul_f16 v6, 0x3574, v20 op_sel_hi:[0,1]
	v_pk_add_f16 v19, v9, v14 op_sel:[1,1] op_sel_hi:[0,0] neg_lo:[1,1] neg_hi:[1,1]
	v_pk_fma_f16 v20, 0x3574, v20, v15 op_sel_hi:[0,1,1] neg_lo:[0,1,1] neg_hi:[0,1,1]
	v_pk_fma_f16 v14, 0x2b26, v18, v14 op_sel_hi:[0,1,1] neg_lo:[0,1,0] neg_hi:[0,1,0]
	v_pk_fma_f16 v8, 0xbcab, v8, v17 op_sel_hi:[0,1,1]
	v_pk_fma_f16 v15, 0xb846, v5, v15 op_sel_hi:[0,1,1] neg_lo:[0,1,0] neg_hi:[0,1,0]
	v_pk_fma_f16 v9, 0x2b26, v18, v9 op_sel_hi:[0,1,1]
	v_pk_fma_f16 v5, 0xb846, v5, v6 op_sel_hi:[0,1,1]
	;; [unrolled: 1-line block ×3, first 2 shown]
	v_pk_add_f16 v18, v19, v8 op_sel:[0,1] op_sel_hi:[1,0]
	v_pk_fma_f16 v15, 0x370e, v4, v15 op_sel_hi:[0,1,1]
	v_pk_add_f16 v14, v14, v8
	v_pk_fma_f16 v4, 0x370e, v4, v5 op_sel_hi:[0,1,1]
	v_pk_add_f16 v5, v9, v8
	v_pk_add_f16 v8, v18, v6
	v_pk_add_f16 v9, v18, v6 neg_lo:[0,1] neg_hi:[0,1]
	v_pk_add_f16 v18, v14, v15 op_sel:[0,1] op_sel_hi:[1,0] neg_lo:[0,1] neg_hi:[0,1]
	v_pk_add_f16 v14, v14, v15 op_sel:[0,1] op_sel_hi:[1,0]
	v_pk_add_f16 v15, v5, v4 op_sel:[0,1] op_sel_hi:[1,0]
	v_pk_add_f16 v6, v5, v4 op_sel:[0,1] op_sel_hi:[1,0] neg_lo:[0,1] neg_hi:[0,1]
	v_alignbit_b32 v4, v9, v8, 16
	v_alignbit_b32 v8, v8, v9, 16
	v_bfi_b32 v5, 0xffff, v18, v14
	v_bfi_b32 v14, 0xffff, v14, v18
	;; [unrolled: 1-line block ×4, first 2 shown]
	ds_store_2addr_b32 v16, v17, v19 offset1:1
	ds_store_2addr_b32 v16, v4, v5 offset0:2 offset1:3
	ds_store_2addr_b32 v16, v14, v8 offset0:4 offset1:5
	ds_store_b32 v16, v9 offset:24
	global_wb scope:SCOPE_SE
	s_wait_dscnt 0x0
	s_barrier_signal -1
	s_barrier_wait -1
	global_inv scope:SCOPE_SE
	ds_load_2addr_b32 v[4:5], v1 offset0:84 offset1:196
	ds_load_2addr_b32 v[8:9], v10 offset0:24 offset1:136
	ds_load_b32 v18, v13
	ds_load_u16 v19, v13 offset:2
	ds_load_b32 v20, v1 offset:1904
	v_lshrrev_b32_e32 v10, 16, v15
                                        ; implicit-def: $vgpr21
	s_and_saveexec_b32 s1, s0
	s_cbranch_execz .LBB0_20
; %bb.19:
	ds_load_2addr_b32 v[6:7], v7 offset0:40 offset1:236
	ds_load_b32 v21, v1 offset:2240
	s_wait_dscnt 0x1
	v_lshrrev_b32_e32 v10, 16, v6
	v_lshrrev_b32_e32 v23, 16, v7
	s_wait_dscnt 0x0
	v_lshrrev_b32_e32 v22, 16, v21
.LBB0_20:
	s_wait_alu 0xfffe
	s_or_b32 exec_lo, exec_lo, s1
	v_and_b32_e32 v16, 0xff, v0
	v_add_nc_u16 v14, v0, 0x54
	v_add_nc_u16 v25, v0, 0xa8
	s_wait_dscnt 0x4
	v_lshrrev_b32_e32 v36, 16, v5
	s_wait_dscnt 0x3
	v_lshrrev_b32_e32 v37, 16, v9
	v_mul_lo_u16 v17, v16, 37
	v_and_b32_e32 v15, 0xff, v14
	v_and_b32_e32 v24, 0xff, v25
	v_lshrrev_b32_e32 v38, 16, v8
	s_wait_dscnt 0x0
	v_lshrrev_b32_e32 v39, 16, v20
	v_lshrrev_b16 v17, 8, v17
	v_mul_lo_u16 v26, v15, 37
	v_mul_lo_u16 v24, v24, 37
	s_delay_alu instid0(VALU_DEP_3) | instskip(NEXT) | instid1(VALU_DEP_3)
	v_sub_nc_u16 v27, v0, v17
	v_lshrrev_b16 v26, 8, v26
	s_delay_alu instid0(VALU_DEP_3) | instskip(NEXT) | instid1(VALU_DEP_3)
	v_lshrrev_b16 v24, 8, v24
	v_lshrrev_b16 v27, 1, v27
	s_delay_alu instid0(VALU_DEP_3) | instskip(NEXT) | instid1(VALU_DEP_3)
	v_sub_nc_u16 v28, v14, v26
	v_sub_nc_u16 v29, v25, v24
	s_delay_alu instid0(VALU_DEP_3) | instskip(NEXT) | instid1(VALU_DEP_3)
	v_and_b32_e32 v27, 0x7f, v27
	v_lshrrev_b16 v28, 1, v28
	s_delay_alu instid0(VALU_DEP_2) | instskip(NEXT) | instid1(VALU_DEP_4)
	v_add_nc_u16 v17, v27, v17
	v_lshrrev_b16 v27, 1, v29
	s_delay_alu instid0(VALU_DEP_3) | instskip(NEXT) | instid1(VALU_DEP_3)
	v_and_b32_e32 v28, 0x7f, v28
	v_lshrrev_b16 v17, 2, v17
	s_delay_alu instid0(VALU_DEP_3) | instskip(NEXT) | instid1(VALU_DEP_3)
	v_and_b32_e32 v27, 0x7f, v27
	v_add_nc_u16 v26, v28, v26
	s_delay_alu instid0(VALU_DEP_3) | instskip(NEXT) | instid1(VALU_DEP_3)
	v_mul_lo_u16 v28, v17, 7
	v_add_nc_u16 v24, v27, v24
	s_delay_alu instid0(VALU_DEP_3)
	v_lshrrev_b16 v32, 2, v26
	v_and_b32_e32 v35, 0xffff, v17
	v_lshrrev_b32_e32 v17, 16, v4
	v_sub_nc_u16 v26, v0, v28
	v_lshrrev_b16 v24, 2, v24
	v_mul_lo_u16 v27, v32, 7
	v_mad_u32_u24 v35, 0x54, v35, 0
	v_and_b32_e32 v32, 0xffff, v32
	v_and_b32_e32 v33, 0xff, v26
	v_mul_lo_u16 v26, v24, 7
	v_sub_nc_u16 v27, v14, v27
	s_delay_alu instid0(VALU_DEP_4) | instskip(NEXT) | instid1(VALU_DEP_4)
	v_mad_u32_u24 v32, 0x54, v32, 0
	v_lshlrev_b32_e32 v28, 3, v33
	s_delay_alu instid0(VALU_DEP_4) | instskip(NEXT) | instid1(VALU_DEP_4)
	v_sub_nc_u16 v25, v25, v26
	v_and_b32_e32 v34, 0xff, v27
	v_lshlrev_b32_e32 v33, 2, v33
	global_load_b64 v[26:27], v28, s[4:5]
	v_and_b32_e32 v25, 0xff, v25
	v_lshlrev_b32_e32 v28, 3, v34
	v_add3_u32 v33, v35, v33, v12
	v_lshlrev_b32_e32 v34, 2, v34
	s_delay_alu instid0(VALU_DEP_4)
	v_lshlrev_b32_e32 v30, 3, v25
	s_clause 0x1
	global_load_b64 v[28:29], v28, s[4:5]
	global_load_b64 v[30:31], v30, s[4:5]
	v_add3_u32 v32, v32, v34, v12
	global_wb scope:SCOPE_SE
	s_wait_loadcnt 0x0
	s_barrier_signal -1
	s_barrier_wait -1
	global_inv scope:SCOPE_SE
	v_lshrrev_b32_e32 v35, 16, v26
	v_lshrrev_b32_e32 v40, 16, v27
	s_delay_alu instid0(VALU_DEP_2) | instskip(SKIP_1) | instid1(VALU_DEP_3)
	v_mul_f16_e32 v34, v35, v36
	v_mul_f16_e32 v35, v35, v5
	;; [unrolled: 1-line block ×4, first 2 shown]
	v_lshrrev_b32_e32 v42, 16, v28
	v_lshrrev_b32_e32 v43, 16, v29
	;; [unrolled: 1-line block ×4, first 2 shown]
	v_fma_f16 v5, v26, v5, -v34
	v_fmac_f16_e32 v35, v26, v36
	v_fma_f16 v9, v27, v9, -v41
	v_fmac_f16_e32 v40, v27, v37
	v_mul_f16_e32 v26, v42, v38
	v_mul_f16_e32 v27, v42, v8
	;; [unrolled: 1-line block ×8, first 2 shown]
	v_fma_f16 v8, v28, v8, -v26
	v_fmac_f16_e32 v27, v28, v38
	v_fma_f16 v20, v29, v20, -v34
	v_fmac_f16_e32 v36, v29, v39
	v_add_f16_e32 v29, v35, v40
	v_fma_f16 v7, v7, v30, -v37
	v_fmac_f16_e32 v41, v23, v30
	v_fma_f16 v21, v21, v31, -v42
	v_fmac_f16_e32 v43, v22, v31
	v_add_f16_e32 v23, v5, v9
	v_add_f16_e32 v28, v19, v35
	v_fmac_f16_e32 v19, -0.5, v29
	v_add_f16_e32 v29, v8, v20
	v_sub_f16_e32 v31, v27, v36
	v_add_f16_e32 v34, v17, v27
	v_add_f16_e32 v27, v27, v36
	;; [unrolled: 1-line block ×3, first 2 shown]
	v_sub_f16_e32 v26, v35, v40
	v_sub_f16_e32 v5, v5, v9
	v_fmac_f16_e32 v18, -0.5, v23
	v_add_f16_e32 v37, v7, v21
	v_add_f16_e32 v39, v41, v43
	;; [unrolled: 1-line block ×4, first 2 shown]
	v_sub_f16_e32 v8, v8, v20
	v_fmac_f16_e32 v4, -0.5, v29
	v_fmac_f16_e32 v17, -0.5, v27
	v_add_f16_e32 v30, v22, v9
	v_add_f16_e32 v35, v6, v7
	v_sub_f16_e32 v9, v41, v43
	v_add_f16_e32 v38, v10, v41
	v_sub_f16_e32 v22, v7, v21
	v_fmamk_f16 v40, v26, 0x3aee, v18
	v_fmac_f16_e32 v18, 0xbaee, v26
	v_fmamk_f16 v26, v5, 0xbaee, v19
	v_fmac_f16_e32 v19, 0x3aee, v5
	v_fmac_f16_e32 v6, -0.5, v37
	v_fmac_f16_e32 v10, -0.5, v39
	v_add_f16_e32 v28, v28, v20
	v_add_f16_e32 v29, v34, v36
	v_fmamk_f16 v5, v31, 0x3aee, v4
	v_fmamk_f16 v20, v8, 0xbaee, v17
	v_fmac_f16_e32 v4, 0xbaee, v31
	v_fmac_f16_e32 v17, 0x3aee, v8
	v_add_f16_e32 v7, v35, v21
	v_add_f16_e32 v21, v38, v43
	v_pack_b32_f16 v23, v30, v23
	v_fmamk_f16 v8, v9, 0x3aee, v6
	v_pack_b32_f16 v26, v40, v26
	v_pack_b32_f16 v19, v18, v19
	v_fmamk_f16 v18, v22, 0xbaee, v10
	v_pack_b32_f16 v27, v28, v29
	v_pack_b32_f16 v28, v5, v20
	;; [unrolled: 1-line block ×3, first 2 shown]
	ds_store_2addr_b32 v33, v23, v26 offset1:7
	ds_store_b32 v33, v19 offset:56
	ds_store_2addr_b32 v32, v27, v28 offset1:7
	ds_store_b32 v32, v29 offset:56
	s_and_saveexec_b32 s1, s0
	s_cbranch_execz .LBB0_22
; %bb.21:
	v_mul_f16_e32 v19, 0x3aee, v22
	v_and_b32_e32 v22, 0xffff, v24
	v_mul_f16_e32 v9, 0x3aee, v9
	v_lshlrev_b32_e32 v23, 2, v25
	s_delay_alu instid0(VALU_DEP_4) | instskip(NEXT) | instid1(VALU_DEP_4)
	v_add_f16_e32 v10, v19, v10
	v_mad_u32_u24 v19, 0x54, v22, 0
	s_delay_alu instid0(VALU_DEP_4) | instskip(SKIP_2) | instid1(VALU_DEP_4)
	v_sub_f16_e32 v6, v6, v9
	v_perm_b32 v9, v21, v7, 0x5040100
	v_perm_b32 v22, v18, v8, 0x5040100
	v_add3_u32 v19, v19, v23, v12
	s_delay_alu instid0(VALU_DEP_4)
	v_pack_b32_f16 v6, v6, v10
	ds_store_2addr_b32 v19, v9, v22 offset1:7
	ds_store_b32 v19, v6 offset:56
.LBB0_22:
	s_wait_alu 0xfffe
	s_or_b32 exec_lo, exec_lo, s1
	v_add_nc_u32_e32 v6, 0x200, v1
	global_wb scope:SCOPE_SE
	s_wait_dscnt 0x0
	s_barrier_signal -1
	s_barrier_wait -1
	global_inv scope:SCOPE_SE
	ds_load_2addr_b32 v[9:10], v6 offset0:19 offset1:166
	ds_load_b32 v19, v13
	ds_load_b32 v22, v1 offset:1764
	v_cmp_gt_u32_e64 s0, 63, v0
	s_delay_alu instid0(VALU_DEP_1)
	s_and_saveexec_b32 s1, s0
	s_cbranch_execz .LBB0_24
; %bb.23:
	v_add_nc_u32_e32 v4, 0x500, v1
	ds_load_2addr_b32 v[5:6], v1 offset0:84 offset1:231
	ds_load_2addr_b32 v[7:8], v4 offset0:58 offset1:205
	s_wait_dscnt 0x1
	v_lshrrev_b32_e32 v20, 16, v5
	v_lshrrev_b32_e32 v17, 16, v6
	s_wait_dscnt 0x0
	v_lshrrev_b32_e32 v21, 16, v7
	v_lshrrev_b32_e32 v18, 16, v8
	v_mov_b32_e32 v4, v6
.LBB0_24:
	s_wait_alu 0xfffe
	s_or_b32 exec_lo, exec_lo, s1
	v_mul_lo_u16 v6, 0x87, v16
	s_wait_dscnt 0x2
	v_lshrrev_b32_e32 v27, 16, v9
	v_lshrrev_b32_e32 v29, 16, v10
	s_wait_dscnt 0x0
	v_lshrrev_b32_e32 v31, 16, v22
	v_lshrrev_b32_e32 v26, 16, v19
	v_lshrrev_b16 v6, 8, v6
	s_delay_alu instid0(VALU_DEP_1) | instskip(NEXT) | instid1(VALU_DEP_1)
	v_sub_nc_u16 v16, v0, v6
	v_lshrrev_b16 v16, 1, v16
	s_delay_alu instid0(VALU_DEP_1) | instskip(NEXT) | instid1(VALU_DEP_1)
	v_and_b32_e32 v16, 0x7f, v16
	v_add_nc_u16 v6, v16, v6
	s_delay_alu instid0(VALU_DEP_1) | instskip(NEXT) | instid1(VALU_DEP_1)
	v_lshrrev_b16 v6, 4, v6
	v_and_b32_e32 v6, 15, v6
	s_delay_alu instid0(VALU_DEP_1) | instskip(SKIP_1) | instid1(VALU_DEP_2)
	v_mul_lo_u16 v16, v6, 21
	v_and_b32_e32 v6, 0xffff, v6
	v_sub_nc_u16 v16, v0, v16
	s_delay_alu instid0(VALU_DEP_2) | instskip(NEXT) | instid1(VALU_DEP_2)
	v_mad_u32_u24 v6, 0x150, v6, 0
	v_and_b32_e32 v16, 0xff, v16
	s_delay_alu instid0(VALU_DEP_1) | instskip(SKIP_1) | instid1(VALU_DEP_2)
	v_mul_u32_u24_e32 v23, 3, v16
	v_lshlrev_b32_e32 v16, 2, v16
	v_lshlrev_b32_e32 v23, 2, v23
	s_delay_alu instid0(VALU_DEP_2)
	v_add3_u32 v6, v6, v16, v12
	global_load_b96 v[23:25], v23, s[4:5] offset:56
	global_wb scope:SCOPE_SE
	s_wait_loadcnt 0x0
	s_barrier_signal -1
	s_barrier_wait -1
	global_inv scope:SCOPE_SE
	v_lshrrev_b32_e32 v28, 16, v23
	v_lshrrev_b32_e32 v30, 16, v24
	v_lshrrev_b32_e32 v32, 16, v25
	s_delay_alu instid0(VALU_DEP_3) | instskip(SKIP_1) | instid1(VALU_DEP_4)
	v_mul_f16_e32 v33, v28, v27
	v_mul_f16_e32 v28, v28, v9
	;; [unrolled: 1-line block ×6, first 2 shown]
	v_fma_f16 v9, v23, v9, -v33
	v_fmac_f16_e32 v28, v23, v27
	v_fma_f16 v10, v24, v10, -v34
	v_fmac_f16_e32 v30, v24, v29
	;; [unrolled: 2-line block ×3, first 2 shown]
	s_delay_alu instid0(VALU_DEP_4) | instskip(NEXT) | instid1(VALU_DEP_4)
	v_sub_f16_e32 v10, v19, v10
	v_sub_f16_e32 v23, v26, v30
	s_delay_alu instid0(VALU_DEP_4) | instskip(NEXT) | instid1(VALU_DEP_4)
	v_sub_f16_e32 v22, v9, v22
	v_sub_f16_e32 v24, v28, v32
	s_delay_alu instid0(VALU_DEP_4) | instskip(NEXT) | instid1(VALU_DEP_4)
	v_fma_f16 v19, v19, 2.0, -v10
	v_fma_f16 v25, v26, 2.0, -v23
	s_delay_alu instid0(VALU_DEP_4) | instskip(NEXT) | instid1(VALU_DEP_4)
	v_fma_f16 v9, v9, 2.0, -v22
	v_fma_f16 v26, v28, 2.0, -v24
	v_sub_f16_e32 v24, v10, v24
	v_add_f16_e32 v22, v23, v22
	s_delay_alu instid0(VALU_DEP_4) | instskip(NEXT) | instid1(VALU_DEP_4)
	v_sub_f16_e32 v9, v19, v9
	v_sub_f16_e32 v26, v25, v26
	s_delay_alu instid0(VALU_DEP_4) | instskip(NEXT) | instid1(VALU_DEP_4)
	v_fma_f16 v10, v10, 2.0, -v24
	v_fma_f16 v23, v23, 2.0, -v22
	v_pack_b32_f16 v16, v24, v22
	v_fma_f16 v19, v19, 2.0, -v9
	v_fma_f16 v25, v25, 2.0, -v26
	v_pack_b32_f16 v9, v9, v26
	v_pack_b32_f16 v10, v10, v23
	s_delay_alu instid0(VALU_DEP_3)
	v_pack_b32_f16 v19, v19, v25
	ds_store_2addr_b32 v6, v19, v10 offset1:21
	ds_store_2addr_b32 v6, v9, v16 offset0:42 offset1:63
	s_and_saveexec_b32 s1, s0
	s_cbranch_execz .LBB0_26
; %bb.25:
	v_mul_lo_u16 v6, 0x87, v15
	s_delay_alu instid0(VALU_DEP_1) | instskip(NEXT) | instid1(VALU_DEP_1)
	v_lshrrev_b16 v6, 8, v6
	v_sub_nc_u16 v9, v14, v6
	s_delay_alu instid0(VALU_DEP_1) | instskip(NEXT) | instid1(VALU_DEP_1)
	v_lshrrev_b16 v9, 1, v9
	v_and_b32_e32 v9, 0x7f, v9
	s_delay_alu instid0(VALU_DEP_1) | instskip(NEXT) | instid1(VALU_DEP_1)
	v_add_nc_u16 v6, v9, v6
	v_lshrrev_b16 v6, 4, v6
	s_delay_alu instid0(VALU_DEP_1) | instskip(NEXT) | instid1(VALU_DEP_1)
	v_and_b32_e32 v6, 15, v6
	v_mul_lo_u16 v9, v6, 21
	v_and_b32_e32 v6, 0xffff, v6
	s_delay_alu instid0(VALU_DEP_2) | instskip(NEXT) | instid1(VALU_DEP_2)
	v_sub_nc_u16 v9, v14, v9
	v_mad_u32_u24 v6, 0x150, v6, 0
	s_delay_alu instid0(VALU_DEP_2) | instskip(NEXT) | instid1(VALU_DEP_1)
	v_and_b32_e32 v9, 0xff, v9
	v_mul_u32_u24_e32 v10, 3, v9
	v_lshlrev_b32_e32 v9, 2, v9
	s_delay_alu instid0(VALU_DEP_2) | instskip(NEXT) | instid1(VALU_DEP_2)
	v_lshlrev_b32_e32 v10, 2, v10
	v_add3_u32 v6, v6, v9, v12
	global_load_b96 v[14:16], v10, s[4:5] offset:56
	s_wait_loadcnt 0x0
	v_lshrrev_b32_e32 v10, 16, v15
	v_lshrrev_b32_e32 v19, 16, v14
	;; [unrolled: 1-line block ×3, first 2 shown]
	s_delay_alu instid0(VALU_DEP_3) | instskip(NEXT) | instid1(VALU_DEP_3)
	v_mul_f16_e32 v23, v21, v10
	v_mul_f16_e32 v24, v4, v19
	s_delay_alu instid0(VALU_DEP_3)
	v_mul_f16_e32 v25, v8, v22
	v_mul_f16_e32 v19, v17, v19
	;; [unrolled: 1-line block ×4, first 2 shown]
	v_fma_f16 v7, v7, v15, -v23
	v_fmac_f16_e32 v24, v17, v14
	v_fma_f16 v4, v4, v14, -v19
	v_fma_f16 v8, v8, v16, -v22
	v_fmac_f16_e32 v10, v21, v15
	v_fmac_f16_e32 v25, v18, v16
	v_sub_f16_e32 v7, v5, v7
	s_delay_alu instid0(VALU_DEP_4) | instskip(NEXT) | instid1(VALU_DEP_4)
	v_sub_f16_e32 v8, v4, v8
	v_sub_f16_e32 v10, v20, v10
	s_delay_alu instid0(VALU_DEP_4) | instskip(NEXT) | instid1(VALU_DEP_4)
	v_sub_f16_e32 v14, v24, v25
	v_fma_f16 v5, v5, 2.0, -v7
	s_delay_alu instid0(VALU_DEP_4) | instskip(NEXT) | instid1(VALU_DEP_4)
	v_fma_f16 v4, v4, 2.0, -v8
	v_fma_f16 v15, v20, 2.0, -v10
	s_delay_alu instid0(VALU_DEP_4) | instskip(SKIP_3) | instid1(VALU_DEP_4)
	v_fma_f16 v16, v24, 2.0, -v14
	v_sub_f16_e32 v14, v7, v14
	v_add_f16_e32 v8, v10, v8
	v_sub_f16_e32 v4, v5, v4
	v_sub_f16_e32 v16, v15, v16
	s_delay_alu instid0(VALU_DEP_4) | instskip(NEXT) | instid1(VALU_DEP_4)
	v_fma_f16 v7, v7, 2.0, -v14
	v_fma_f16 v10, v10, 2.0, -v8
	s_delay_alu instid0(VALU_DEP_4) | instskip(SKIP_4) | instid1(VALU_DEP_3)
	v_fma_f16 v5, v5, 2.0, -v4
	v_pack_b32_f16 v8, v14, v8
	v_fma_f16 v15, v15, 2.0, -v16
	v_pack_b32_f16 v4, v4, v16
	v_pack_b32_f16 v7, v7, v10
	;; [unrolled: 1-line block ×3, first 2 shown]
	ds_store_2addr_b32 v6, v5, v7 offset1:21
	ds_store_2addr_b32 v6, v4, v8 offset0:42 offset1:63
.LBB0_26:
	s_wait_alu 0xfffe
	s_or_b32 exec_lo, exec_lo, s1
	v_mul_u32_u24_e32 v4, 6, v0
	global_wb scope:SCOPE_SE
	s_wait_dscnt 0x0
	s_barrier_signal -1
	s_barrier_wait -1
	global_inv scope:SCOPE_SE
	v_lshlrev_b32_e32 v8, 2, v4
	v_add_nc_u32_e32 v10, 0x200, v1
	v_add_nc_u32_e32 v18, 0x400, v1
	s_clause 0x1
	global_load_b128 v[4:7], v8, s[4:5] offset:308
	global_load_b64 v[8:9], v8, s[4:5] offset:324
	ds_load_2addr_b32 v[14:15], v1 offset0:84 offset1:168
	ds_load_b32 v19, v13
	ds_load_2addr_b32 v[12:13], v10 offset0:124 offset1:208
	ds_load_2addr_b32 v[16:17], v18 offset0:164 offset1:248
	global_wb scope:SCOPE_SE
	s_wait_loadcnt_dscnt 0x0
	s_barrier_signal -1
	s_barrier_wait -1
	global_inv scope:SCOPE_SE
	v_lshrrev_b32_e32 v21, 16, v19
	v_lshrrev_b32_e32 v10, 16, v14
	;; [unrolled: 1-line block ×13, first 2 shown]
	v_mul_f16_e32 v32, v26, v10
	v_mul_f16_e32 v26, v26, v14
	;; [unrolled: 1-line block ×12, first 2 shown]
	v_fma_f16 v14, v4, v14, -v32
	v_fmac_f16_e32 v26, v4, v10
	v_fma_f16 v4, v5, v15, -v33
	v_fmac_f16_e32 v27, v5, v20
	v_fma_f16 v5, v6, v12, -v34
	v_fmac_f16_e32 v28, v6, v22
	v_fma_f16 v6, v7, v13, -v35
	v_fma_f16 v10, v9, v17, -v37
	v_fmac_f16_e32 v31, v9, v25
	v_fmac_f16_e32 v29, v7, v23
	v_fma_f16 v7, v8, v16, -v36
	v_fmac_f16_e32 v30, v8, v24
	v_add_f16_e32 v8, v14, v10
	v_add_f16_e32 v9, v26, v31
	v_sub_f16_e32 v10, v14, v10
	v_add_f16_e32 v13, v4, v7
	v_add_f16_e32 v14, v27, v30
	v_sub_f16_e32 v12, v26, v31
	v_sub_f16_e32 v4, v4, v7
	;; [unrolled: 1-line block ×3, first 2 shown]
	v_add_f16_e32 v15, v5, v6
	v_add_f16_e32 v16, v28, v29
	v_sub_f16_e32 v5, v6, v5
	v_sub_f16_e32 v6, v29, v28
	v_add_f16_e32 v17, v13, v8
	v_add_f16_e32 v20, v14, v9
	v_sub_f16_e32 v22, v13, v8
	v_sub_f16_e32 v23, v14, v9
	;; [unrolled: 1-line block ×6, first 2 shown]
	v_add_f16_e32 v24, v5, v4
	v_add_f16_e32 v25, v6, v7
	v_sub_f16_e32 v26, v5, v4
	v_sub_f16_e32 v27, v6, v7
	;; [unrolled: 1-line block ×3, first 2 shown]
	v_add_f16_e32 v15, v15, v17
	v_add_f16_e32 v16, v16, v20
	v_sub_f16_e32 v4, v4, v10
	v_sub_f16_e32 v5, v10, v5
	;; [unrolled: 1-line block ×3, first 2 shown]
	v_add_f16_e32 v10, v24, v10
	v_add_f16_e32 v12, v25, v12
	v_mul_f16_e32 v8, 0x3a52, v8
	v_mul_f16_e32 v9, 0x3a52, v9
	;; [unrolled: 1-line block ×7, first 2 shown]
	v_add_f16_e32 v19, v15, v19
	v_add_f16_e32 v21, v16, v21
	v_mul_f16_e32 v26, 0x3b00, v4
	v_fmamk_f16 v13, v13, 0x2b26, v8
	v_fmamk_f16 v14, v14, 0x2b26, v9
	v_fma_f16 v17, v22, 0x39e0, -v17
	v_fma_f16 v20, v23, 0x39e0, -v20
	v_fma_f16 v8, v22, 0xb9e0, -v8
	v_fma_f16 v9, v23, 0xb9e0, -v9
	v_fmamk_f16 v22, v5, 0x3574, v24
	v_fmamk_f16 v23, v6, 0x3574, v25
	v_fma_f16 v7, v7, 0x3b00, -v25
	v_fma_f16 v6, v6, 0xb574, -v27
	v_fmamk_f16 v15, v15, 0xbcab, v19
	v_fmamk_f16 v16, v16, 0xbcab, v21
	v_fma_f16 v4, v4, 0x3b00, -v24
	v_fma_f16 v5, v5, 0xb574, -v26
	v_fmac_f16_e32 v22, 0x370e, v10
	v_fmac_f16_e32 v23, 0x370e, v12
	;; [unrolled: 1-line block ×4, first 2 shown]
	v_add_f16_e32 v12, v13, v15
	v_add_f16_e32 v13, v14, v16
	v_fmac_f16_e32 v4, 0x370e, v10
	v_fmac_f16_e32 v5, 0x370e, v10
	v_add_f16_e32 v14, v17, v15
	v_add_f16_e32 v8, v8, v15
	;; [unrolled: 1-line block ×5, first 2 shown]
	v_sub_f16_e32 v17, v13, v22
	v_pack_b32_f16 v10, v19, v21
	v_add_f16_e32 v19, v6, v8
	v_sub_f16_e32 v20, v9, v5
	v_sub_f16_e32 v21, v14, v7
	v_add_f16_e32 v24, v4, v15
	v_add_f16_e32 v7, v7, v14
	v_sub_f16_e32 v4, v15, v4
	v_sub_f16_e32 v6, v8, v6
	v_add_f16_e32 v5, v5, v9
	v_sub_f16_e32 v8, v12, v23
	v_add_f16_e32 v9, v22, v13
	v_pack_b32_f16 v12, v16, v17
	v_pack_b32_f16 v13, v19, v20
	;; [unrolled: 1-line block ×6, first 2 shown]
	ds_store_2addr_b32 v1, v10, v12 offset1:84
	ds_store_2addr_b32 v1, v13, v14 offset0:168 offset1:252
	ds_store_2addr_b32 v18, v4, v5 offset0:80 offset1:164
	ds_store_b32 v1, v6 offset:2016
	global_wb scope:SCOPE_SE
	s_wait_dscnt 0x0
	s_barrier_signal -1
	s_barrier_wait -1
	global_inv scope:SCOPE_SE
	s_and_saveexec_b32 s0, vcc_lo
	s_cbranch_execz .LBB0_28
; %bb.27:
	v_dual_mov_b32 v1, 0 :: v_dual_add_nc_u32 v4, 0x54, v0
	v_add_co_u32 v21, vcc_lo, s8, v2
	v_lshl_add_u32 v20, v0, 2, v11
	s_delay_alu instid0(VALU_DEP_3)
	v_dual_mov_b32 v5, v1 :: v_dual_add_nc_u32 v8, 0xa8, v0
	s_wait_alu 0xfffd
	v_add_co_ci_u32_e32 v22, vcc_lo, s9, v3, vcc_lo
	v_lshlrev_b64_e32 v[2:3], 2, v[0:1]
	v_dual_mov_b32 v9, v1 :: v_dual_add_nc_u32 v12, 0xfc, v0
	v_lshlrev_b64_e32 v[4:5], 2, v[4:5]
	v_dual_mov_b32 v13, v1 :: v_dual_add_nc_u32 v14, 0x150, v0
	v_dual_mov_b32 v15, v1 :: v_dual_add_nc_u32 v18, 0x400, v20
	ds_load_2addr_b32 v[6:7], v20 offset1:84
	v_add_co_u32 v2, vcc_lo, v21, v2
	v_lshlrev_b64_e32 v[8:9], 2, v[8:9]
	s_wait_alu 0xfffd
	v_add_co_ci_u32_e32 v3, vcc_lo, v22, v3, vcc_lo
	ds_load_2addr_b32 v[10:11], v20 offset0:168 offset1:252
	v_add_co_u32 v4, vcc_lo, v21, v4
	v_lshlrev_b64_e32 v[12:13], 2, v[12:13]
	v_dual_mov_b32 v17, v1 :: v_dual_add_nc_u32 v16, 0x1a4, v0
	ds_load_2addr_b32 v[18:19], v18 offset0:80 offset1:164
	s_wait_alu 0xfffd
	v_add_co_ci_u32_e32 v5, vcc_lo, v22, v5, vcc_lo
	v_add_co_u32 v8, vcc_lo, v21, v8
	v_lshlrev_b64_e32 v[14:15], 2, v[14:15]
	ds_load_b32 v20, v20 offset:2016
	v_add_nc_u32_e32 v0, 0x1f8, v0
	s_wait_alu 0xfffd
	v_add_co_ci_u32_e32 v9, vcc_lo, v22, v9, vcc_lo
	v_add_co_u32 v12, vcc_lo, v21, v12
	v_lshlrev_b64_e32 v[16:17], 2, v[16:17]
	s_wait_alu 0xfffd
	v_add_co_ci_u32_e32 v13, vcc_lo, v22, v13, vcc_lo
	v_add_co_u32 v14, vcc_lo, v21, v14
	v_lshlrev_b64_e32 v[0:1], 2, v[0:1]
	s_wait_alu 0xfffd
	v_add_co_ci_u32_e32 v15, vcc_lo, v22, v15, vcc_lo
	v_add_co_u32 v16, vcc_lo, v21, v16
	s_wait_alu 0xfffd
	v_add_co_ci_u32_e32 v17, vcc_lo, v22, v17, vcc_lo
	v_add_co_u32 v0, vcc_lo, v21, v0
	s_wait_alu 0xfffd
	v_add_co_ci_u32_e32 v1, vcc_lo, v22, v1, vcc_lo
	s_wait_dscnt 0x3
	s_clause 0x1
	global_store_b32 v[2:3], v6, off
	global_store_b32 v[4:5], v7, off
	s_wait_dscnt 0x2
	s_clause 0x1
	global_store_b32 v[8:9], v10, off
	global_store_b32 v[12:13], v11, off
	;; [unrolled: 4-line block ×3, first 2 shown]
	s_wait_dscnt 0x0
	global_store_b32 v[0:1], v20, off
.LBB0_28:
	s_nop 0
	s_sendmsg sendmsg(MSG_DEALLOC_VGPRS)
	s_endpgm
	.section	.rodata,"a",@progbits
	.p2align	6, 0x0
	.amdhsa_kernel fft_rtc_fwd_len588_factors_7_3_4_7_wgs_252_tpt_84_half_ip_CI_unitstride_sbrr_C2R_dirReg
		.amdhsa_group_segment_fixed_size 0
		.amdhsa_private_segment_fixed_size 0
		.amdhsa_kernarg_size 88
		.amdhsa_user_sgpr_count 2
		.amdhsa_user_sgpr_dispatch_ptr 0
		.amdhsa_user_sgpr_queue_ptr 0
		.amdhsa_user_sgpr_kernarg_segment_ptr 1
		.amdhsa_user_sgpr_dispatch_id 0
		.amdhsa_user_sgpr_private_segment_size 0
		.amdhsa_wavefront_size32 1
		.amdhsa_uses_dynamic_stack 0
		.amdhsa_enable_private_segment 0
		.amdhsa_system_sgpr_workgroup_id_x 1
		.amdhsa_system_sgpr_workgroup_id_y 0
		.amdhsa_system_sgpr_workgroup_id_z 0
		.amdhsa_system_sgpr_workgroup_info 0
		.amdhsa_system_vgpr_workitem_id 0
		.amdhsa_next_free_vgpr 46
		.amdhsa_next_free_sgpr 32
		.amdhsa_reserve_vcc 1
		.amdhsa_float_round_mode_32 0
		.amdhsa_float_round_mode_16_64 0
		.amdhsa_float_denorm_mode_32 3
		.amdhsa_float_denorm_mode_16_64 3
		.amdhsa_fp16_overflow 0
		.amdhsa_workgroup_processor_mode 1
		.amdhsa_memory_ordered 1
		.amdhsa_forward_progress 0
		.amdhsa_round_robin_scheduling 0
		.amdhsa_exception_fp_ieee_invalid_op 0
		.amdhsa_exception_fp_denorm_src 0
		.amdhsa_exception_fp_ieee_div_zero 0
		.amdhsa_exception_fp_ieee_overflow 0
		.amdhsa_exception_fp_ieee_underflow 0
		.amdhsa_exception_fp_ieee_inexact 0
		.amdhsa_exception_int_div_zero 0
	.end_amdhsa_kernel
	.text
.Lfunc_end0:
	.size	fft_rtc_fwd_len588_factors_7_3_4_7_wgs_252_tpt_84_half_ip_CI_unitstride_sbrr_C2R_dirReg, .Lfunc_end0-fft_rtc_fwd_len588_factors_7_3_4_7_wgs_252_tpt_84_half_ip_CI_unitstride_sbrr_C2R_dirReg
                                        ; -- End function
	.section	.AMDGPU.csdata,"",@progbits
; Kernel info:
; codeLenInByte = 6808
; NumSgprs: 34
; NumVgprs: 46
; ScratchSize: 0
; MemoryBound: 0
; FloatMode: 240
; IeeeMode: 1
; LDSByteSize: 0 bytes/workgroup (compile time only)
; SGPRBlocks: 4
; VGPRBlocks: 5
; NumSGPRsForWavesPerEU: 34
; NumVGPRsForWavesPerEU: 46
; Occupancy: 16
; WaveLimiterHint : 1
; COMPUTE_PGM_RSRC2:SCRATCH_EN: 0
; COMPUTE_PGM_RSRC2:USER_SGPR: 2
; COMPUTE_PGM_RSRC2:TRAP_HANDLER: 0
; COMPUTE_PGM_RSRC2:TGID_X_EN: 1
; COMPUTE_PGM_RSRC2:TGID_Y_EN: 0
; COMPUTE_PGM_RSRC2:TGID_Z_EN: 0
; COMPUTE_PGM_RSRC2:TIDIG_COMP_CNT: 0
	.text
	.p2alignl 7, 3214868480
	.fill 96, 4, 3214868480
	.type	__hip_cuid_3772d2f597943e0c,@object ; @__hip_cuid_3772d2f597943e0c
	.section	.bss,"aw",@nobits
	.globl	__hip_cuid_3772d2f597943e0c
__hip_cuid_3772d2f597943e0c:
	.byte	0                               ; 0x0
	.size	__hip_cuid_3772d2f597943e0c, 1

	.ident	"AMD clang version 19.0.0git (https://github.com/RadeonOpenCompute/llvm-project roc-6.4.0 25133 c7fe45cf4b819c5991fe208aaa96edf142730f1d)"
	.section	".note.GNU-stack","",@progbits
	.addrsig
	.addrsig_sym __hip_cuid_3772d2f597943e0c
	.amdgpu_metadata
---
amdhsa.kernels:
  - .args:
      - .actual_access:  read_only
        .address_space:  global
        .offset:         0
        .size:           8
        .value_kind:     global_buffer
      - .offset:         8
        .size:           8
        .value_kind:     by_value
      - .actual_access:  read_only
        .address_space:  global
        .offset:         16
        .size:           8
        .value_kind:     global_buffer
      - .actual_access:  read_only
        .address_space:  global
        .offset:         24
        .size:           8
        .value_kind:     global_buffer
      - .offset:         32
        .size:           8
        .value_kind:     by_value
      - .actual_access:  read_only
        .address_space:  global
        .offset:         40
        .size:           8
        .value_kind:     global_buffer
      - .actual_access:  read_only
        .address_space:  global
        .offset:         48
        .size:           8
        .value_kind:     global_buffer
      - .offset:         56
        .size:           4
        .value_kind:     by_value
      - .actual_access:  read_only
        .address_space:  global
        .offset:         64
        .size:           8
        .value_kind:     global_buffer
      - .actual_access:  read_only
        .address_space:  global
        .offset:         72
        .size:           8
        .value_kind:     global_buffer
      - .address_space:  global
        .offset:         80
        .size:           8
        .value_kind:     global_buffer
    .group_segment_fixed_size: 0
    .kernarg_segment_align: 8
    .kernarg_segment_size: 88
    .language:       OpenCL C
    .language_version:
      - 2
      - 0
    .max_flat_workgroup_size: 252
    .name:           fft_rtc_fwd_len588_factors_7_3_4_7_wgs_252_tpt_84_half_ip_CI_unitstride_sbrr_C2R_dirReg
    .private_segment_fixed_size: 0
    .sgpr_count:     34
    .sgpr_spill_count: 0
    .symbol:         fft_rtc_fwd_len588_factors_7_3_4_7_wgs_252_tpt_84_half_ip_CI_unitstride_sbrr_C2R_dirReg.kd
    .uniform_work_group_size: 1
    .uses_dynamic_stack: false
    .vgpr_count:     46
    .vgpr_spill_count: 0
    .wavefront_size: 32
    .workgroup_processor_mode: 1
amdhsa.target:   amdgcn-amd-amdhsa--gfx1201
amdhsa.version:
  - 1
  - 2
...

	.end_amdgpu_metadata
